;; amdgpu-corpus repo=ROCm/rocFFT kind=compiled arch=gfx1030 opt=O3
	.text
	.amdgcn_target "amdgcn-amd-amdhsa--gfx1030"
	.amdhsa_code_object_version 6
	.protected	fft_rtc_fwd_len1728_factors_3_6_6_16_wgs_108_tpt_108_halfLds_half_op_CI_CI_sbrr_dirReg ; -- Begin function fft_rtc_fwd_len1728_factors_3_6_6_16_wgs_108_tpt_108_halfLds_half_op_CI_CI_sbrr_dirReg
	.globl	fft_rtc_fwd_len1728_factors_3_6_6_16_wgs_108_tpt_108_halfLds_half_op_CI_CI_sbrr_dirReg
	.p2align	8
	.type	fft_rtc_fwd_len1728_factors_3_6_6_16_wgs_108_tpt_108_halfLds_half_op_CI_CI_sbrr_dirReg,@function
fft_rtc_fwd_len1728_factors_3_6_6_16_wgs_108_tpt_108_halfLds_half_op_CI_CI_sbrr_dirReg: ; @fft_rtc_fwd_len1728_factors_3_6_6_16_wgs_108_tpt_108_halfLds_half_op_CI_CI_sbrr_dirReg
; %bb.0:
	s_clause 0x2
	s_load_dwordx4 s[16:19], s[4:5], 0x18
	s_load_dwordx4 s[12:15], s[4:5], 0x0
	;; [unrolled: 1-line block ×3, first 2 shown]
	v_mul_u32_u24_e32 v1, 0x25f, v0
	v_mov_b32_e32 v3, 0
	s_waitcnt lgkmcnt(0)
	s_load_dwordx2 s[20:21], s[16:17], 0x0
	s_load_dwordx2 s[2:3], s[18:19], 0x0
	v_cmp_lt_u64_e64 s0, s[14:15], 2
	v_add_nc_u32_sdwa v5, s6, v1 dst_sel:DWORD dst_unused:UNUSED_PAD src0_sel:DWORD src1_sel:WORD_1
	v_mov_b32_e32 v1, 0
	v_mov_b32_e32 v6, v3
	;; [unrolled: 1-line block ×3, first 2 shown]
	s_and_b32 vcc_lo, exec_lo, s0
	s_cbranch_vccnz .LBB0_8
; %bb.1:
	s_load_dwordx2 s[0:1], s[4:5], 0x10
	v_mov_b32_e32 v1, 0
	v_mov_b32_e32 v2, 0
	s_add_u32 s6, s18, 8
	s_addc_u32 s7, s19, 0
	s_add_u32 s22, s16, 8
	s_addc_u32 s23, s17, 0
	v_mov_b32_e32 v16, v2
	v_mov_b32_e32 v15, v1
	s_mov_b64 s[26:27], 1
	s_waitcnt lgkmcnt(0)
	s_add_u32 s24, s0, 8
	s_addc_u32 s25, s1, 0
.LBB0_2:                                ; =>This Inner Loop Header: Depth=1
	s_load_dwordx2 s[28:29], s[24:25], 0x0
                                        ; implicit-def: $vgpr17_vgpr18
	s_mov_b32 s0, exec_lo
	s_waitcnt lgkmcnt(0)
	v_or_b32_e32 v4, s29, v6
	v_cmpx_ne_u64_e32 0, v[3:4]
	s_xor_b32 s1, exec_lo, s0
	s_cbranch_execz .LBB0_4
; %bb.3:                                ;   in Loop: Header=BB0_2 Depth=1
	v_cvt_f32_u32_e32 v4, s28
	v_cvt_f32_u32_e32 v7, s29
	s_sub_u32 s0, 0, s28
	s_subb_u32 s30, 0, s29
	v_fmac_f32_e32 v4, 0x4f800000, v7
	v_rcp_f32_e32 v4, v4
	v_mul_f32_e32 v4, 0x5f7ffffc, v4
	v_mul_f32_e32 v7, 0x2f800000, v4
	v_trunc_f32_e32 v7, v7
	v_fmac_f32_e32 v4, 0xcf800000, v7
	v_cvt_u32_f32_e32 v7, v7
	v_cvt_u32_f32_e32 v4, v4
	v_mul_lo_u32 v8, s0, v7
	v_mul_hi_u32 v9, s0, v4
	v_mul_lo_u32 v10, s30, v4
	v_add_nc_u32_e32 v8, v9, v8
	v_mul_lo_u32 v9, s0, v4
	v_add_nc_u32_e32 v8, v8, v10
	v_mul_hi_u32 v10, v4, v9
	v_mul_lo_u32 v11, v4, v8
	v_mul_hi_u32 v12, v4, v8
	v_mul_hi_u32 v13, v7, v9
	v_mul_lo_u32 v9, v7, v9
	v_mul_hi_u32 v14, v7, v8
	v_mul_lo_u32 v8, v7, v8
	v_add_co_u32 v10, vcc_lo, v10, v11
	v_add_co_ci_u32_e32 v11, vcc_lo, 0, v12, vcc_lo
	v_add_co_u32 v9, vcc_lo, v10, v9
	v_add_co_ci_u32_e32 v9, vcc_lo, v11, v13, vcc_lo
	v_add_co_ci_u32_e32 v10, vcc_lo, 0, v14, vcc_lo
	v_add_co_u32 v8, vcc_lo, v9, v8
	v_add_co_ci_u32_e32 v9, vcc_lo, 0, v10, vcc_lo
	v_add_co_u32 v4, vcc_lo, v4, v8
	v_add_co_ci_u32_e32 v7, vcc_lo, v7, v9, vcc_lo
	v_mul_hi_u32 v8, s0, v4
	v_mul_lo_u32 v10, s30, v4
	v_mul_lo_u32 v9, s0, v7
	v_add_nc_u32_e32 v8, v8, v9
	v_mul_lo_u32 v9, s0, v4
	v_add_nc_u32_e32 v8, v8, v10
	v_mul_hi_u32 v10, v4, v9
	v_mul_lo_u32 v11, v4, v8
	v_mul_hi_u32 v12, v4, v8
	v_mul_hi_u32 v13, v7, v9
	v_mul_lo_u32 v9, v7, v9
	v_mul_hi_u32 v14, v7, v8
	v_mul_lo_u32 v8, v7, v8
	v_add_co_u32 v10, vcc_lo, v10, v11
	v_add_co_ci_u32_e32 v11, vcc_lo, 0, v12, vcc_lo
	v_add_co_u32 v9, vcc_lo, v10, v9
	v_add_co_ci_u32_e32 v9, vcc_lo, v11, v13, vcc_lo
	v_add_co_ci_u32_e32 v10, vcc_lo, 0, v14, vcc_lo
	v_add_co_u32 v8, vcc_lo, v9, v8
	v_add_co_ci_u32_e32 v9, vcc_lo, 0, v10, vcc_lo
	v_add_co_u32 v4, vcc_lo, v4, v8
	v_add_co_ci_u32_e32 v11, vcc_lo, v7, v9, vcc_lo
	v_mul_hi_u32 v13, v5, v4
	v_mad_u64_u32 v[9:10], null, v6, v4, 0
	v_mad_u64_u32 v[7:8], null, v5, v11, 0
	v_mad_u64_u32 v[11:12], null, v6, v11, 0
	v_add_co_u32 v4, vcc_lo, v13, v7
	v_add_co_ci_u32_e32 v7, vcc_lo, 0, v8, vcc_lo
	v_add_co_u32 v4, vcc_lo, v4, v9
	v_add_co_ci_u32_e32 v4, vcc_lo, v7, v10, vcc_lo
	v_add_co_ci_u32_e32 v7, vcc_lo, 0, v12, vcc_lo
	v_add_co_u32 v4, vcc_lo, v4, v11
	v_add_co_ci_u32_e32 v9, vcc_lo, 0, v7, vcc_lo
	v_mul_lo_u32 v10, s29, v4
	v_mad_u64_u32 v[7:8], null, s28, v4, 0
	v_mul_lo_u32 v11, s28, v9
	v_sub_co_u32 v7, vcc_lo, v5, v7
	v_add3_u32 v8, v8, v11, v10
	v_sub_nc_u32_e32 v10, v6, v8
	v_subrev_co_ci_u32_e64 v10, s0, s29, v10, vcc_lo
	v_add_co_u32 v11, s0, v4, 2
	v_add_co_ci_u32_e64 v12, s0, 0, v9, s0
	v_sub_co_u32 v13, s0, v7, s28
	v_sub_co_ci_u32_e32 v8, vcc_lo, v6, v8, vcc_lo
	v_subrev_co_ci_u32_e64 v10, s0, 0, v10, s0
	v_cmp_le_u32_e32 vcc_lo, s28, v13
	v_cmp_eq_u32_e64 s0, s29, v8
	v_cndmask_b32_e64 v13, 0, -1, vcc_lo
	v_cmp_le_u32_e32 vcc_lo, s29, v10
	v_cndmask_b32_e64 v14, 0, -1, vcc_lo
	v_cmp_le_u32_e32 vcc_lo, s28, v7
	;; [unrolled: 2-line block ×3, first 2 shown]
	v_cndmask_b32_e64 v17, 0, -1, vcc_lo
	v_cmp_eq_u32_e32 vcc_lo, s29, v10
	v_cndmask_b32_e64 v7, v17, v7, s0
	v_cndmask_b32_e32 v10, v14, v13, vcc_lo
	v_add_co_u32 v13, vcc_lo, v4, 1
	v_add_co_ci_u32_e32 v14, vcc_lo, 0, v9, vcc_lo
	v_cmp_ne_u32_e32 vcc_lo, 0, v10
	v_cndmask_b32_e32 v8, v14, v12, vcc_lo
	v_cndmask_b32_e32 v10, v13, v11, vcc_lo
	v_cmp_ne_u32_e32 vcc_lo, 0, v7
	v_cndmask_b32_e32 v18, v9, v8, vcc_lo
	v_cndmask_b32_e32 v17, v4, v10, vcc_lo
.LBB0_4:                                ;   in Loop: Header=BB0_2 Depth=1
	s_andn2_saveexec_b32 s0, s1
	s_cbranch_execz .LBB0_6
; %bb.5:                                ;   in Loop: Header=BB0_2 Depth=1
	v_cvt_f32_u32_e32 v4, s28
	s_sub_i32 s1, 0, s28
	v_mov_b32_e32 v18, v3
	v_rcp_iflag_f32_e32 v4, v4
	v_mul_f32_e32 v4, 0x4f7ffffe, v4
	v_cvt_u32_f32_e32 v4, v4
	v_mul_lo_u32 v7, s1, v4
	v_mul_hi_u32 v7, v4, v7
	v_add_nc_u32_e32 v4, v4, v7
	v_mul_hi_u32 v4, v5, v4
	v_mul_lo_u32 v7, v4, s28
	v_add_nc_u32_e32 v8, 1, v4
	v_sub_nc_u32_e32 v7, v5, v7
	v_subrev_nc_u32_e32 v9, s28, v7
	v_cmp_le_u32_e32 vcc_lo, s28, v7
	v_cndmask_b32_e32 v7, v7, v9, vcc_lo
	v_cndmask_b32_e32 v4, v4, v8, vcc_lo
	v_cmp_le_u32_e32 vcc_lo, s28, v7
	v_add_nc_u32_e32 v8, 1, v4
	v_cndmask_b32_e32 v17, v4, v8, vcc_lo
.LBB0_6:                                ;   in Loop: Header=BB0_2 Depth=1
	s_or_b32 exec_lo, exec_lo, s0
	v_mul_lo_u32 v4, v18, s28
	v_mul_lo_u32 v9, v17, s29
	s_load_dwordx2 s[0:1], s[22:23], 0x0
	v_mad_u64_u32 v[7:8], null, v17, s28, 0
	s_load_dwordx2 s[28:29], s[6:7], 0x0
	s_add_u32 s26, s26, 1
	s_addc_u32 s27, s27, 0
	s_add_u32 s6, s6, 8
	s_addc_u32 s7, s7, 0
	s_add_u32 s22, s22, 8
	v_add3_u32 v4, v8, v9, v4
	v_sub_co_u32 v5, vcc_lo, v5, v7
	s_addc_u32 s23, s23, 0
	s_add_u32 s24, s24, 8
	v_sub_co_ci_u32_e32 v4, vcc_lo, v6, v4, vcc_lo
	s_addc_u32 s25, s25, 0
	s_waitcnt lgkmcnt(0)
	v_mul_lo_u32 v6, s0, v4
	v_mul_lo_u32 v7, s1, v5
	v_mad_u64_u32 v[1:2], null, s0, v5, v[1:2]
	v_mul_lo_u32 v4, s28, v4
	v_mul_lo_u32 v8, s29, v5
	v_mad_u64_u32 v[15:16], null, s28, v5, v[15:16]
	v_cmp_ge_u64_e64 s0, s[26:27], s[14:15]
	v_add3_u32 v2, v7, v2, v6
	v_add3_u32 v16, v8, v16, v4
	s_and_b32 vcc_lo, exec_lo, s0
	s_cbranch_vccnz .LBB0_9
; %bb.7:                                ;   in Loop: Header=BB0_2 Depth=1
	v_mov_b32_e32 v5, v17
	v_mov_b32_e32 v6, v18
	s_branch .LBB0_2
.LBB0_8:
	v_mov_b32_e32 v16, v2
	v_mov_b32_e32 v18, v6
	;; [unrolled: 1-line block ×4, first 2 shown]
.LBB0_9:
	s_load_dwordx2 s[0:1], s[4:5], 0x28
	v_mul_hi_u32 v22, 0x25ed098, v0
	s_lshl_b64 s[6:7], s[14:15], 3
                                        ; implicit-def: $sgpr14
                                        ; implicit-def: $vgpr3
                                        ; implicit-def: $vgpr6
                                        ; implicit-def: $vgpr7
                                        ; implicit-def: $vgpr4
                                        ; implicit-def: $vgpr5
	s_add_u32 s4, s18, s6
	s_addc_u32 s5, s19, s7
	s_waitcnt lgkmcnt(0)
	v_cmp_gt_u64_e32 vcc_lo, s[0:1], v[17:18]
	v_cmp_le_u64_e64 s0, s[0:1], v[17:18]
	s_and_saveexec_b32 s1, s0
	s_xor_b32 s0, exec_lo, s1
; %bb.10:
	v_mul_u32_u24_e32 v1, 0x6c, v22
	s_mov_b32 s14, 0
                                        ; implicit-def: $vgpr22
	v_sub_nc_u32_e32 v3, v0, v1
                                        ; implicit-def: $vgpr0
                                        ; implicit-def: $vgpr1_vgpr2
	v_add_nc_u32_e32 v6, 0x6c, v3
	v_add_nc_u32_e32 v7, 0xd8, v3
	;; [unrolled: 1-line block ×4, first 2 shown]
; %bb.11:
	s_or_saveexec_b32 s1, s0
	s_load_dwordx2 s[4:5], s[4:5], 0x0
	v_mov_b32_e32 v19, s14
                                        ; implicit-def: $vgpr43
                                        ; implicit-def: $vgpr13
                                        ; implicit-def: $vgpr59
                                        ; implicit-def: $vgpr23
                                        ; implicit-def: $vgpr54
                                        ; implicit-def: $vgpr37
                                        ; implicit-def: $vgpr44
                                        ; implicit-def: $vgpr14
                                        ; implicit-def: $vgpr60
                                        ; implicit-def: $vgpr21
                                        ; implicit-def: $vgpr57
                                        ; implicit-def: $vgpr26
                                        ; implicit-def: $vgpr45
                                        ; implicit-def: $vgpr20
                                        ; implicit-def: $vgpr58
                                        ; implicit-def: $vgpr12
                                        ; implicit-def: $vgpr53
                                        ; implicit-def: $vgpr40
                                        ; implicit-def: $vgpr49
                                        ; implicit-def: $vgpr27
                                        ; implicit-def: $vgpr56
                                        ; implicit-def: $vgpr41
                                        ; implicit-def: $vgpr55
                                        ; implicit-def: $vgpr42
                                        ; implicit-def: $vgpr11
                                        ; implicit-def: $vgpr8
                                        ; implicit-def: $vgpr52
                                        ; implicit-def: $vgpr38
                                        ; implicit-def: $vgpr51
                                        ; implicit-def: $vgpr39
                                        ; implicit-def: $vgpr10
                                        ; implicit-def: $vgpr9
                                        ; implicit-def: $vgpr47
                                        ; implicit-def: $vgpr48
                                        ; implicit-def: $vgpr50
                                        ; implicit-def: $vgpr46
	s_xor_b32 exec_lo, exec_lo, s1
	s_cbranch_execz .LBB0_15
; %bb.12:
	s_add_u32 s6, s16, s6
	s_addc_u32 s7, s17, s7
	v_mul_u32_u24_e32 v3, 0x6c, v22
	s_load_dwordx2 s[6:7], s[6:7], 0x0
                                        ; implicit-def: $vgpr46
                                        ; implicit-def: $vgpr50
                                        ; implicit-def: $vgpr48
                                        ; implicit-def: $vgpr47
	v_sub_nc_u32_e32 v3, v0, v3
	v_lshlrev_b64 v[0:1], 2, v[1:2]
	v_mad_u64_u32 v[4:5], null, s20, v3, 0
	v_add_nc_u32_e32 v21, 0x240, v3
	v_or_b32_e32 v24, 0x480, v3
	v_add_nc_u32_e32 v6, 0x6c, v3
	v_add_nc_u32_e32 v26, 0x2ac, v3
	;; [unrolled: 1-line block ×3, first 2 shown]
	v_mad_u64_u32 v[7:8], null, s20, v21, 0
	v_mov_b32_e32 v2, v5
	v_mad_u64_u32 v[9:10], null, s20, v24, 0
	s_waitcnt lgkmcnt(0)
	v_mul_lo_u32 v5, s7, v17
	v_mul_lo_u32 v22, s6, v18
	v_mad_u64_u32 v[11:12], null, s6, v17, 0
	v_mad_u64_u32 v[13:14], null, s21, v3, v[2:3]
	v_mov_b32_e32 v2, v8
	v_mov_b32_e32 v8, v10
	v_mad_u64_u32 v[19:20], null, s20, v6, 0
	v_add3_u32 v12, v12, v22, v5
	v_mad_u64_u32 v[21:22], null, s21, v21, v[2:3]
	v_mov_b32_e32 v5, v13
	v_mad_u64_u32 v[22:23], null, s20, v26, 0
	v_lshlrev_b64 v[10:11], 2, v[11:12]
	v_mad_u64_u32 v[12:13], null, s21, v24, v[8:9]
	v_lshlrev_b64 v[4:5], 2, v[4:5]
	v_mov_b32_e32 v8, v21
	v_mov_b32_e32 v2, v20
	v_add_co_u32 v13, s0, s8, v10
	v_add_co_ci_u32_e64 v11, s0, s9, v11, s0
	v_lshlrev_b64 v[7:8], 2, v[7:8]
	v_add_co_u32 v0, s0, v13, v0
	v_add_co_ci_u32_e64 v1, s0, v11, v1, s0
	v_mov_b32_e32 v10, v12
	v_add_co_u32 v11, s0, v0, v4
	v_add_co_ci_u32_e64 v12, s0, v1, v5, s0
	v_mad_u64_u32 v[4:5], null, s21, v6, v[2:3]
	v_add_nc_u32_e32 v21, 0x4ec, v3
	v_add_co_u32 v24, s0, v0, v7
	v_mov_b32_e32 v2, v23
	v_add_co_ci_u32_e64 v25, s0, v1, v8, s0
	v_lshlrev_b64 v[7:8], 2, v[9:10]
	v_mov_b32_e32 v20, v4
	v_mad_u64_u32 v[4:5], null, s20, v21, 0
	v_mad_u64_u32 v[9:10], null, s21, v26, v[2:3]
	v_add_co_u32 v26, s0, v0, v7
	v_add_nc_u32_e32 v7, 0xd8, v3
	v_lshlrev_b64 v[13:14], 2, v[19:20]
	v_mov_b32_e32 v2, v5
	v_add_co_ci_u32_e64 v27, s0, v1, v8, s0
	v_mov_b32_e32 v23, v9
	v_mad_u64_u32 v[8:9], null, s20, v7, 0
	v_mad_u64_u32 v[19:20], null, s21, v21, v[2:3]
	v_add_co_u32 v20, s0, v0, v13
	v_add_co_ci_u32_e64 v21, s0, v1, v14, s0
	v_lshlrev_b64 v[13:14], 2, v[22:23]
	v_mad_u64_u32 v[22:23], null, s20, v30, 0
	v_mov_b32_e32 v2, v9
	v_mov_b32_e32 v5, v19
	v_add_nc_u32_e32 v19, 0x384, v3
	v_add_co_u32 v28, s0, v0, v13
	v_mad_u64_u32 v[9:10], null, s21, v7, v[2:3]
	v_mov_b32_e32 v2, v23
	v_add_nc_u32_e32 v10, 0x558, v3
	v_add_co_ci_u32_e64 v29, s0, v1, v14, s0
	v_lshlrev_b64 v[4:5], 2, v[4:5]
	v_mad_u64_u32 v[13:14], null, s21, v30, v[2:3]
	v_mad_u64_u32 v[30:31], null, s20, v10, 0
	v_lshlrev_b64 v[8:9], 2, v[8:9]
	v_add_co_u32 v32, s0, v0, v4
	v_add_nc_u32_e32 v4, 0x144, v3
	v_mov_b32_e32 v23, v13
	v_add_co_ci_u32_e64 v33, s0, v1, v5, s0
	v_mov_b32_e32 v2, v31
	v_mad_u64_u32 v[34:35], null, s20, v4, 0
	v_lshlrev_b64 v[13:14], 2, v[22:23]
	v_add_co_u32 v8, s0, v0, v8
	v_mad_u64_u32 v[22:23], null, s21, v10, v[2:3]
	v_add_co_ci_u32_e64 v9, s0, v1, v9, s0
	v_mov_b32_e32 v2, v35
	v_mad_u64_u32 v[38:39], null, s20, v19, 0
	v_add_co_u32 v35, s0, v0, v13
	v_mov_b32_e32 v31, v22
	v_mad_u64_u32 v[22:23], null, s21, v4, v[2:3]
	v_add_co_ci_u32_e64 v36, s0, v1, v14, s0
	s_clause 0x7
	global_load_dword v13, v[11:12], off
	global_load_dword v23, v[24:25], off
	;; [unrolled: 1-line block ×8, first 2 shown]
	v_lshlrev_b64 v[8:9], 2, v[30:31]
	v_add_nc_u32_e32 v31, 0x5c4, v3
	v_mov_b32_e32 v2, v39
	v_add_nc_u32_e32 v5, 0x1b0, v3
	v_mov_b32_e32 v35, v22
	v_add_nc_u32_e32 v22, 0x630, v3
	v_mad_u64_u32 v[10:11], null, s20, v31, 0
	v_mad_u64_u32 v[24:25], null, s21, v19, v[2:3]
	;; [unrolled: 1-line block ×3, first 2 shown]
	v_add_nc_u32_e32 v19, 0x3f0, v3
	v_lshlrev_b64 v[29:30], 2, v[34:35]
	v_mov_b32_e32 v2, v11
	v_add_co_u32 v8, s0, v0, v8
	v_mov_b32_e32 v39, v24
	v_add_co_ci_u32_e64 v9, s0, v1, v9, s0
	v_mad_u64_u32 v[24:25], null, s21, v31, v[2:3]
	v_mad_u64_u32 v[31:32], null, s20, v19, 0
	v_mov_b32_e32 v2, v28
	v_lshlrev_b64 v[38:39], 2, v[38:39]
	v_add_co_u32 v29, s0, v0, v29
	v_mov_b32_e32 v11, v24
	v_mad_u64_u32 v[33:34], null, s21, v5, v[2:3]
	v_mad_u64_u32 v[34:35], null, s20, v22, 0
	v_mov_b32_e32 v2, v32
	v_lshlrev_b64 v[10:11], 2, v[10:11]
	v_add_co_ci_u32_e64 v30, s0, v1, v30, s0
	v_mov_b32_e32 v28, v33
	v_mad_u64_u32 v[24:25], null, s21, v19, v[2:3]
	v_mov_b32_e32 v2, v35
	v_add_co_u32 v38, s0, v0, v38
	v_lshlrev_b64 v[27:28], 2, v[27:28]
	v_add_co_ci_u32_e64 v39, s0, v1, v39, s0
	v_mad_u64_u32 v[35:36], null, s21, v22, v[2:3]
	v_mov_b32_e32 v32, v24
	v_add_co_u32 v10, s0, v0, v10
	v_add_co_ci_u32_e64 v11, s0, v1, v11, s0
	v_lshlrev_b64 v[24:25], 2, v[31:32]
	v_add_co_u32 v31, s0, v0, v27
	v_add_co_ci_u32_e64 v32, s0, v1, v28, s0
	v_lshlrev_b64 v[27:28], 2, v[34:35]
	v_add_co_u32 v24, s0, v0, v24
	v_add_co_ci_u32_e64 v25, s0, v1, v25, s0
	s_mov_b32 s6, exec_lo
	v_add_co_u32 v33, s0, v0, v27
	v_add_co_ci_u32_e64 v34, s0, v1, v28, s0
	s_clause 0x6
	global_load_dword v40, v[8:9], off
	global_load_dword v27, v[29:30], off
	;; [unrolled: 1-line block ×7, first 2 shown]
                                        ; implicit-def: $vgpr9
                                        ; implicit-def: $vgpr10
	v_cmpx_gt_u32_e32 36, v3
	s_cbranch_execz .LBB0_14
; %bb.13:
	v_add_nc_u32_e32 v19, 0x21c, v3
	v_add_nc_u32_e32 v22, 0x45c, v3
	;; [unrolled: 1-line block ×3, first 2 shown]
	v_mad_u64_u32 v[9:10], null, s20, v19, 0
	v_mad_u64_u32 v[24:25], null, s20, v22, 0
	;; [unrolled: 1-line block ×3, first 2 shown]
	v_mov_b32_e32 v2, v10
	v_mov_b32_e32 v10, v25
	;; [unrolled: 1-line block ×3, first 2 shown]
	v_mad_u64_u32 v[29:30], null, s21, v19, v[2:3]
	v_mad_u64_u32 v[30:31], null, s21, v22, v[10:11]
	s_waitcnt vmcnt(7)
	v_mad_u64_u32 v[31:32], null, s21, v32, v[11:12]
	v_mov_b32_e32 v10, v29
	v_mov_b32_e32 v25, v30
	v_lshlrev_b64 v[9:10], 2, v[9:10]
	v_mov_b32_e32 v29, v31
	v_lshlrev_b64 v[24:25], 2, v[24:25]
	v_lshlrev_b64 v[28:29], 2, v[28:29]
	v_add_co_u32 v9, s0, v0, v9
	v_add_co_ci_u32_e64 v10, s0, v1, v10, s0
	v_add_co_u32 v24, s0, v0, v24
	v_add_co_ci_u32_e64 v25, s0, v1, v25, s0
	;; [unrolled: 2-line block ×3, first 2 shown]
	s_clause 0x2
	global_load_dword v9, v[9:10], off
	global_load_dword v46, v[24:25], off
	global_load_dword v48, v[0:1], off
	s_waitcnt vmcnt(2)
	v_lshrrev_b32_e32 v10, 16, v9
	s_waitcnt vmcnt(1)
	v_lshrrev_b32_e32 v50, 16, v46
	s_waitcnt vmcnt(0)
	v_lshrrev_b32_e32 v47, 16, v48
.LBB0_14:
	s_or_b32 exec_lo, exec_lo, s6
	s_waitcnt vmcnt(14)
	v_lshrrev_b32_e32 v43, 16, v13
	s_waitcnt vmcnt(13)
	v_lshrrev_b32_e32 v59, 16, v23
	;; [unrolled: 2-line block ×15, first 2 shown]
	v_mov_b32_e32 v19, v3
.LBB0_15:
	s_or_b32 exec_lo, exec_lo, s1
	v_add_f16_e32 v0, v23, v37
	v_add_f16_e32 v1, v13, v23
	v_sub_f16_e32 v2, v59, v54
	v_add_f16_e32 v22, v21, v26
	v_sub_f16_e32 v24, v60, v57
	v_fmac_f16_e32 v13, -0.5, v0
	v_add_f16_e32 v0, v14, v21
	v_add_f16_e32 v1, v1, v37
	v_fmac_f16_e32 v14, -0.5, v22
	v_add_f16_e32 v22, v41, v42
	v_fmamk_f16 v28, v2, 0x3aee, v13
	v_fmac_f16_e32 v13, 0xbaee, v2
	v_add_f16_e32 v29, v0, v26
	v_add_f16_e32 v0, v12, v40
	;; [unrolled: 1-line block ×3, first 2 shown]
	v_fmamk_f16 v30, v24, 0x3aee, v14
	v_fmac_f16_e32 v14, 0xbaee, v24
	v_sub_f16_e32 v24, v52, v51
	v_fmac_f16_e32 v20, -0.5, v0
	v_sub_f16_e32 v0, v58, v53
	v_add_f16_e32 v31, v2, v40
	v_add_f16_e32 v2, v27, v41
	v_fmac_f16_e32 v27, -0.5, v22
	v_sub_f16_e32 v22, v56, v55
	v_fmamk_f16 v32, v0, 0x3aee, v20
	v_fmac_f16_e32 v20, 0xbaee, v0
	v_add_f16_e32 v33, v2, v42
	v_add_f16_e32 v0, v38, v39
	v_fmamk_f16 v34, v22, 0x3aee, v27
	v_add_f16_e32 v2, v8, v38
	v_fmac_f16_e32 v27, 0xbaee, v22
	v_add_f16_e32 v22, v48, v46
	v_fmac_f16_e32 v8, -0.5, v0
	v_sub_f16_e32 v35, v50, v47
	v_add_f16_e32 v0, v2, v39
	v_add_f16_e32 v2, v9, v46
	v_fmac_f16_e32 v9, -0.5, v22
	v_mad_u32_u24 v62, v3, 6, 0
	v_fmamk_f16 v22, v24, 0x3aee, v8
	v_fmac_f16_e32 v8, 0xbaee, v24
	v_add_f16_e32 v24, v48, v2
	v_fmamk_f16 v25, v35, 0x3aee, v9
	v_fmac_f16_e32 v9, 0xbaee, v35
	v_mad_i32_i24 v61, v6, 6, 0
	ds_write_b16 v62, v1
	ds_write_b16 v62, v28 offset:2
	ds_write_b16 v62, v13 offset:4
	v_mad_i32_i24 v2, v7, 6, 0
	v_mad_i32_i24 v1, v4, 6, 0
	v_cmp_gt_u32_e64 s1, 36, v3
	v_mad_i32_i24 v13, v5, 6, 0
	ds_write_b16 v61, v29
	ds_write_b16 v61, v30 offset:2
	ds_write_b16 v61, v14 offset:4
	ds_write_b16 v2, v31
	ds_write_b16 v2, v32 offset:2
	ds_write_b16 v2, v20 offset:4
	;; [unrolled: 3-line block ×4, first 2 shown]
	s_and_saveexec_b32 s0, s1
	s_cbranch_execz .LBB0_17
; %bb.16:
	ds_write_b16 v62, v24 offset:3240
	ds_write_b16 v62, v25 offset:3242
	;; [unrolled: 1-line block ×3, first 2 shown]
.LBB0_17:
	s_or_b32 exec_lo, exec_lo, s0
	v_lshlrev_b32_e32 v13, 2, v3
	v_lshlrev_b32_e32 v1, 2, v6
	s_waitcnt lgkmcnt(0)
	s_barrier
	buffer_gl0_inv
	v_sub_nc_u32_e32 v20, v62, v13
	v_sub_nc_u32_e32 v14, v61, v1
	v_mul_i32_i24_e32 v65, 6, v4
	v_mul_i32_i24_e32 v64, 6, v5
	v_cmp_gt_u32_e64 s0, 0x48, v3
	ds_read_u16 v13, v20
	ds_read_u16 v33, v20 offset:576
	ds_read_u16 v29, v20 offset:2304
	;; [unrolled: 1-line block ×7, first 2 shown]
	ds_read_u16 v14, v14
	ds_read_u16 v28, v20 offset:3096
	ds_read_u16 v35, v20 offset:2880
	;; [unrolled: 1-line block ×3, first 2 shown]
	v_lshlrev_b32_e32 v63, 2, v7
	s_and_saveexec_b32 s6, s0
	s_cbranch_execz .LBB0_19
; %bb.18:
	v_sub_nc_u32_e32 v0, v2, v63
	ds_read_u16 v22, v20 offset:1008
	ds_read_u16 v8, v20 offset:1584
	;; [unrolled: 1-line block ×4, first 2 shown]
	ds_read_u16 v0, v0
	ds_read_u16 v9, v20 offset:3312
.LBB0_19:
	s_or_b32 exec_lo, exec_lo, s6
	v_sub_f16_e32 v23, v23, v37
	v_add_f16_e32 v37, v60, v57
	v_add_f16_e32 v67, v59, v54
	v_sub_nc_u32_e32 v66, 0, v1
	v_add_f16_e32 v1, v43, v59
	v_add_f16_e32 v59, v44, v60
	v_sub_f16_e32 v21, v21, v26
	v_fmac_f16_e32 v44, -0.5, v37
	v_fmac_f16_e32 v43, -0.5, v67
	v_add_f16_e32 v26, v1, v54
	v_add_f16_e32 v1, v58, v53
	v_sub_f16_e32 v39, v38, v39
	v_fmamk_f16 v54, v21, 0xbaee, v44
	v_fmac_f16_e32 v44, 0x3aee, v21
	v_add_f16_e32 v21, v56, v55
	v_fmamk_f16 v37, v23, 0xbaee, v43
	v_fmac_f16_e32 v43, 0x3aee, v23
	v_add_f16_e32 v23, v59, v57
	v_add_f16_e32 v57, v45, v58
	v_fmac_f16_e32 v45, -0.5, v1
	v_sub_f16_e32 v1, v12, v40
	v_add_f16_e32 v40, v49, v56
	v_fmac_f16_e32 v49, -0.5, v21
	v_sub_f16_e32 v21, v41, v42
	v_add_f16_e32 v12, v57, v53
	v_fmamk_f16 v41, v1, 0xbaee, v45
	v_fmac_f16_e32 v45, 0x3aee, v1
	v_add_f16_e32 v1, v52, v51
	v_fmamk_f16 v53, v21, 0xbaee, v49
	v_fmac_f16_e32 v49, 0x3aee, v21
	v_add_f16_e32 v21, v47, v50
	v_add_f16_e32 v42, v40, v55
	;; [unrolled: 1-line block ×3, first 2 shown]
	v_fmac_f16_e32 v11, -0.5, v1
	v_add_f16_e32 v50, v10, v50
	v_fmac_f16_e32 v10, -0.5, v21
	v_sub_f16_e32 v21, v46, v48
	v_add_f16_e32 v1, v40, v51
	v_fmamk_f16 v38, v39, 0xbaee, v11
	v_fmac_f16_e32 v11, 0x3aee, v39
	v_add_f16_e32 v39, v47, v50
	v_fmamk_f16 v40, v21, 0xbaee, v10
	v_fmac_f16_e32 v10, 0x3aee, v21
	v_add_nc_u32_e32 v21, 0, v65
	s_waitcnt lgkmcnt(0)
	s_barrier
	buffer_gl0_inv
	ds_write_b16 v62, v26
	ds_write_b16 v62, v37 offset:2
	ds_write_b16 v62, v43 offset:4
	ds_write_b16 v61, v23
	ds_write_b16 v61, v54 offset:2
	ds_write_b16 v61, v44 offset:4
	ds_write_b16 v2, v12
	ds_write_b16 v2, v41 offset:2
	v_add_nc_u32_e32 v12, 0, v64
	ds_write_b16 v2, v45 offset:4
	ds_write_b16 v21, v42
	ds_write_b16 v21, v53 offset:2
	ds_write_b16 v21, v49 offset:4
	ds_write_b16 v12, v1
	ds_write_b16 v12, v38 offset:2
	ds_write_b16 v12, v11 offset:4
	s_and_saveexec_b32 s6, s1
	s_cbranch_execz .LBB0_21
; %bb.20:
	v_add_nc_u32_e32 v12, 0x21c, v3
	v_mad_u32_u24 v12, v12, 6, 0
	ds_write_b16 v12, v39
	ds_write_b16 v12, v40 offset:2
	ds_write_b16 v12, v10 offset:4
.LBB0_21:
	s_or_b32 exec_lo, exec_lo, s6
	s_waitcnt lgkmcnt(0)
	s_barrier
	buffer_gl0_inv
	ds_read_u16 v26, v20
	ds_read_u16 v44, v20 offset:576
	v_add_nc_u32_e32 v21, v61, v66
	ds_read_u16 v45, v20 offset:2304
	ds_read_u16 v42, v20 offset:1944
	;; [unrolled: 1-line block ×6, first 2 shown]
	ds_read_u16 v23, v21
	ds_read_u16 v43, v20 offset:3096
	ds_read_u16 v51, v20 offset:2880
	;; [unrolled: 1-line block ×3, first 2 shown]
	s_and_saveexec_b32 s1, s0
	s_cbranch_execz .LBB0_23
; %bb.22:
	v_sub_nc_u32_e32 v1, v2, v63
	ds_read_u16 v38, v20 offset:1008
	ds_read_u16 v11, v20 offset:1584
	;; [unrolled: 1-line block ×4, first 2 shown]
	ds_read_u16 v1, v1
	ds_read_u16 v10, v20 offset:3312
.LBB0_23:
	s_or_b32 exec_lo, exec_lo, s1
	v_and_b32_e32 v2, 0xff, v3
	v_and_b32_e32 v12, 0xff, v6
	v_mov_b32_e32 v54, 0xaaab
	v_mov_b32_e32 v52, 5
	;; [unrolled: 1-line block ×3, first 2 shown]
	v_mul_lo_u16 v37, 0xab, v2
	v_lshrrev_b16 v41, 9, v37
	v_mul_lo_u16 v37, 0xab, v12
	v_mul_lo_u16 v49, v41, 3
	v_lshrrev_b16 v55, 9, v37
	v_mul_u32_u24_sdwa v37, v7, v54 dst_sel:DWORD dst_unused:UNUSED_PAD src0_sel:WORD_0 src1_sel:DWORD
	v_sub_nc_u16 v49, v3, v49
	v_mul_lo_u16 v54, v55, 3
	v_lshrrev_b32_e32 v57, 17, v37
	v_mul_u32_u24_sdwa v56, v49, v52 dst_sel:DWORD dst_unused:UNUSED_PAD src0_sel:BYTE_0 src1_sel:DWORD
	v_sub_nc_u16 v54, v6, v54
	v_mul_lo_u16 v37, v57, 3
	v_lshlrev_b32_sdwa v49, v70, v49 dst_sel:DWORD dst_unused:UNUSED_PAD src0_sel:DWORD src1_sel:BYTE_0
	v_lshlrev_b32_e32 v56, 2, v56
	v_mul_u32_u24_sdwa v58, v54, v52 dst_sel:DWORD dst_unused:UNUSED_PAD src0_sel:BYTE_0 src1_sel:DWORD
	v_sub_nc_u16 v37, v7, v37
	v_lshlrev_b32_sdwa v54, v70, v54 dst_sel:DWORD dst_unused:UNUSED_PAD src0_sel:DWORD src1_sel:BYTE_0
	s_clause 0x1
	global_load_dwordx4 v[71:74], v56, s[12:13]
	global_load_dword v83, v56, s[12:13] offset:16
	v_mul_u32_u24_sdwa v52, v37, v52 dst_sel:DWORD dst_unused:UNUSED_PAD src0_sel:WORD_0 src1_sel:DWORD
	v_lshlrev_b32_e32 v58, 2, v58
	v_lshlrev_b32_e32 v52, 2, v52
	s_clause 0x3
	global_load_dwordx4 v[75:78], v58, s[12:13]
	global_load_dword v84, v58, s[12:13] offset:16
	global_load_dwordx4 v[79:82], v52, s[12:13]
	global_load_dword v85, v52, s[12:13] offset:16
	v_mov_b32_e32 v52, 36
	s_waitcnt vmcnt(0) lgkmcnt(0)
	s_barrier
	buffer_gl0_inv
	v_mul_u32_u24_sdwa v56, v41, v52 dst_sel:DWORD dst_unused:UNUSED_PAD src0_sel:WORD_0 src1_sel:DWORD
	v_mul_u32_u24_sdwa v55, v55, v52 dst_sel:DWORD dst_unused:UNUSED_PAD src0_sel:WORD_0 src1_sel:DWORD
	v_mul_lo_u16 v41, v57, 18
	v_add3_u32 v52, 0, v56, v49
	v_add3_u32 v49, 0, v55, v54
	v_mul_f16_sdwa v69, v44, v71 dst_sel:DWORD dst_unused:UNUSED_PAD src0_sel:DWORD src1_sel:WORD_1
	v_mul_f16_sdwa v87, v50, v73 dst_sel:DWORD dst_unused:UNUSED_PAD src0_sel:DWORD src1_sel:WORD_1
	;; [unrolled: 1-line block ×29, first 2 shown]
	v_fma_f16 v69, v33, v71, -v69
	v_fma_f16 v33, v34, v73, -v87
	v_fmac_f16_e32 v67, v50, v73
	v_fma_f16 v50, v29, v74, -v88
	v_fma_f16 v29, v35, v83, -v89
	v_fmac_f16_e32 v65, v51, v83
	v_fma_f16 v27, v27, v77, -v92
	v_fmac_f16_e32 v60, v42, v77
	;; [unrolled: 2-line block ×3, first 2 shown]
	v_fmac_f16_e32 v54, v38, v79
	v_fma_f16 v38, v8, v80, -v96
	v_fma_f16 v8, v24, v81, -v97
	v_fmac_f16_e32 v57, v39, v81
	v_fma_f16 v9, v9, v85, -v99
	v_fmac_f16_e32 v55, v10, v85
	v_mul_f16_sdwa v68, v36, v72 dst_sel:DWORD dst_unused:UNUSED_PAD src0_sel:DWORD src1_sel:WORD_1
	v_fmac_f16_e32 v66, v44, v71
	v_fma_f16 v71, v36, v72, -v86
	v_fmac_f16_e32 v64, v45, v74
	v_fma_f16 v44, v32, v75, -v90
	;; [unrolled: 2-line block ×5, first 2 shown]
	v_fma_f16 v39, v25, v82, -v98
	v_fmac_f16_e32 v59, v40, v82
	v_add_f16_e32 v25, v33, v29
	v_add_f16_e32 v31, v67, v65
	;; [unrolled: 1-line block ×6, first 2 shown]
	v_fmac_f16_e32 v68, v53, v72
	v_fmac_f16_e32 v58, v11, v80
	v_add_f16_e32 v10, v13, v71
	v_add_f16_e32 v11, v71, v50
	;; [unrolled: 1-line block ×3, first 2 shown]
	v_sub_f16_e32 v30, v67, v65
	v_sub_f16_e32 v32, v33, v29
	v_add_f16_e32 v33, v14, v45
	v_add_f16_e32 v36, v44, v27
	v_sub_f16_e32 v43, v60, v61
	v_sub_f16_e32 v27, v27, v28
	v_add_f16_e32 v51, v0, v38
	v_add_f16_e32 v53, v38, v39
	;; [unrolled: 1-line block ×3, first 2 shown]
	v_sub_f16_e32 v76, v57, v55
	v_sub_f16_e32 v8, v8, v9
	v_fmac_f16_e32 v69, -0.5, v25
	v_fma_f16 v72, -0.5, v31, v66
	v_fmac_f16_e32 v44, -0.5, v40
	v_fma_f16 v48, -0.5, v47, v56
	;; [unrolled: 2-line block ×3, first 2 shown]
	v_sub_f16_e32 v22, v68, v64
	v_add_f16_e32 v34, v45, v46
	v_add_f16_e32 v10, v10, v50
	v_fmac_f16_e32 v13, -0.5, v11
	v_add_f16_e32 v11, v24, v29
	v_add_f16_e32 v24, v33, v46
	;; [unrolled: 1-line block ×4, first 2 shown]
	v_fmac_f16_e32 v0, -0.5, v53
	v_add_f16_e32 v9, v73, v9
	v_fmamk_f16 v74, v30, 0x3aee, v69
	v_fmac_f16_e32 v69, 0xbaee, v30
	v_fmamk_f16 v73, v32, 0xbaee, v72
	v_fmamk_f16 v53, v43, 0x3aee, v44
	v_fmac_f16_e32 v44, 0xbaee, v43
	v_fmamk_f16 v51, v27, 0xbaee, v48
	;; [unrolled: 3-line block ×3, first 2 shown]
	v_sub_f16_e32 v35, v62, v63
	v_sub_f16_e32 v75, v58, v59
	v_fmac_f16_e32 v14, -0.5, v34
	v_fmamk_f16 v29, v22, 0x3aee, v13
	v_fmac_f16_e32 v13, 0xbaee, v22
	v_fmac_f16_e32 v72, 0x3aee, v32
	v_add_f16_e32 v22, v10, v11
	v_sub_f16_e32 v10, v10, v11
	v_fmac_f16_e32 v48, 0x3aee, v27
	v_add_f16_e32 v27, v24, v25
	v_sub_f16_e32 v31, v24, v25
	;; [unrolled: 3-line block ×3, first 2 shown]
	v_mul_f16_e32 v9, 0x3aee, v73
	v_mul_f16_e32 v24, -0.5, v69
	v_mul_f16_e32 v28, 0x3aee, v51
	v_mul_f16_e32 v32, -0.5, v44
	;; [unrolled: 2-line block ×3, first 2 shown]
	v_fmamk_f16 v30, v35, 0x3aee, v14
	v_fmac_f16_e32 v14, 0xbaee, v35
	v_fmamk_f16 v25, v75, 0x3aee, v0
	v_fmac_f16_e32 v0, 0xbaee, v75
	v_fmac_f16_e32 v9, 0.5, v74
	v_fmac_f16_e32 v24, 0x3aee, v72
	v_fmac_f16_e32 v28, 0.5, v53
	;; [unrolled: 2-line block ×3, first 2 shown]
	v_fmac_f16_e32 v34, 0x3aee, v40
	ds_write_b16 v52, v22
	ds_write_b16 v52, v10 offset:18
	v_add_f16_e32 v10, v29, v9
	v_add_f16_e32 v22, v13, v24
	v_sub_f16_e32 v9, v29, v9
	v_sub_f16_e32 v29, v13, v24
	v_add_f16_e32 v35, v30, v28
	v_add_f16_e32 v36, v14, v32
	v_sub_f16_e32 v28, v30, v28
	v_sub_f16_e32 v30, v14, v32
	v_add_f16_e32 v14, v25, v33
	v_add_f16_e32 v24, v0, v34
	v_sub_f16_e32 v13, v25, v33
	v_sub_f16_e32 v25, v0, v34
	ds_write_b16 v52, v10 offset:6
	ds_write_b16 v52, v22 offset:12
	;; [unrolled: 1-line block ×4, first 2 shown]
	ds_write_b16 v49, v27
	ds_write_b16 v49, v35 offset:6
	ds_write_b16 v49, v36 offset:12
	ds_write_b16 v49, v31 offset:18
	ds_write_b16 v49, v28 offset:24
	ds_write_b16 v49, v30 offset:30
	s_and_saveexec_b32 s1, s0
	s_cbranch_execz .LBB0_25
; %bb.24:
	v_lshlrev_b32_sdwa v0, v70, v37 dst_sel:DWORD dst_unused:UNUSED_PAD src0_sel:DWORD src1_sel:WORD_0
	v_lshlrev_b32_sdwa v9, v70, v41 dst_sel:DWORD dst_unused:UNUSED_PAD src0_sel:DWORD src1_sel:WORD_0
	v_add3_u32 v0, 0, v0, v9
	ds_write_b16 v0, v8
	ds_write_b16 v0, v14 offset:6
	ds_write_b16 v0, v24 offset:12
	;; [unrolled: 1-line block ×5, first 2 shown]
.LBB0_25:
	s_or_b32 exec_lo, exec_lo, s1
	s_waitcnt lgkmcnt(0)
	s_barrier
	buffer_gl0_inv
	ds_read_u16 v9, v20
	ds_read_u16 v31, v20 offset:576
	ds_read_u16 v28, v20 offset:2304
	ds_read_u16 v27, v20 offset:1944
	ds_read_u16 v34, v20 offset:1728
	ds_read_u16 v30, v20 offset:1368
	ds_read_u16 v36, v20 offset:1152
	ds_read_u16 v33, v20 offset:792
	ds_read_u16 v10, v21
	ds_read_u16 v29, v20 offset:3096
	ds_read_u16 v35, v20 offset:2880
	;; [unrolled: 1-line block ×3, first 2 shown]
	v_lshl_add_u32 v22, v7, 1, 0
	s_and_saveexec_b32 s1, s0
	s_cbranch_execz .LBB0_27
; %bb.26:
	ds_read_u16 v14, v20 offset:1008
	ds_read_u16 v24, v20 offset:1584
	;; [unrolled: 1-line block ×4, first 2 shown]
	ds_read_u16 v8, v22
	ds_read_u16 v25, v20 offset:3312
.LBB0_27:
	s_or_b32 exec_lo, exec_lo, s1
	v_add_f16_e32 v0, v68, v64
	v_add_f16_e32 v68, v26, v68
	v_sub_f16_e32 v50, v71, v50
	v_add_f16_e32 v66, v66, v67
	v_mul_f16_e32 v67, 0xbaee, v74
	v_fmac_f16_e32 v26, -0.5, v0
	v_mul_f16_e32 v0, -0.5, v72
	v_add_f16_e32 v64, v68, v64
	v_add_f16_e32 v65, v66, v65
	v_fmac_f16_e32 v67, 0.5, v73
	v_fmamk_f16 v66, v50, 0xbaee, v26
	v_fmac_f16_e32 v0, 0xbaee, v69
	v_fmac_f16_e32 v26, 0x3aee, v50
	v_add_f16_e32 v70, v62, v63
	v_add_f16_e32 v50, v64, v65
	;; [unrolled: 1-line block ×3, first 2 shown]
	v_sub_f16_e32 v64, v64, v65
	v_add_f16_e32 v69, v26, v0
	v_sub_f16_e32 v65, v66, v67
	v_sub_f16_e32 v66, v26, v0
	v_add_f16_e32 v0, v23, v62
	v_fmac_f16_e32 v23, -0.5, v70
	v_add_f16_e32 v26, v56, v60
	v_sub_f16_e32 v45, v45, v46
	v_mul_f16_e32 v46, 0xbaee, v53
	v_add_f16_e32 v0, v0, v63
	v_mul_f16_e32 v48, -0.5, v48
	v_add_f16_e32 v26, v26, v61
	v_fmamk_f16 v53, v45, 0xbaee, v23
	v_fmac_f16_e32 v23, 0x3aee, v45
	v_add_f16_e32 v45, v58, v59
	v_fmac_f16_e32 v48, 0xbaee, v44
	v_add_f16_e32 v44, v0, v26
	v_add_f16_e32 v56, v1, v58
	v_sub_f16_e32 v60, v0, v26
	v_fmac_f16_e32 v1, -0.5, v45
	v_sub_f16_e32 v0, v38, v39
	v_add_f16_e32 v26, v54, v57
	v_mul_f16_e32 v45, 0xbaee, v47
	v_mul_f16_e32 v47, -0.5, v40
	v_add_f16_e32 v39, v56, v59
	v_fmamk_f16 v40, v0, 0xbaee, v1
	v_fmac_f16_e32 v1, 0x3aee, v0
	v_add_f16_e32 v54, v26, v55
	v_fmac_f16_e32 v45, 0.5, v43
	v_fmac_f16_e32 v47, 0xbaee, v42
	v_fmac_f16_e32 v46, 0.5, v51
	v_add_f16_e32 v58, v23, v48
	v_add_f16_e32 v0, v39, v54
	v_add_f16_e32 v26, v40, v45
	v_add_f16_e32 v38, v1, v47
	v_sub_f16_e32 v39, v39, v54
	v_sub_f16_e32 v40, v40, v45
	;; [unrolled: 1-line block ×3, first 2 shown]
	v_add_f16_e32 v51, v53, v46
	v_sub_f16_e32 v43, v53, v46
	v_sub_f16_e32 v23, v23, v48
	s_waitcnt lgkmcnt(0)
	s_barrier
	buffer_gl0_inv
	ds_write_b16 v52, v50
	ds_write_b16 v52, v68 offset:6
	ds_write_b16 v52, v69 offset:12
	;; [unrolled: 1-line block ×5, first 2 shown]
	ds_write_b16 v49, v44
	ds_write_b16 v49, v51 offset:6
	ds_write_b16 v49, v58 offset:12
	;; [unrolled: 1-line block ×5, first 2 shown]
	s_and_saveexec_b32 s1, s0
	s_cbranch_execz .LBB0_29
; %bb.28:
	v_mov_b32_e32 v1, 1
	v_lshlrev_b32_sdwa v23, v1, v37 dst_sel:DWORD dst_unused:UNUSED_PAD src0_sel:DWORD src1_sel:WORD_0
	v_lshlrev_b32_sdwa v1, v1, v41 dst_sel:DWORD dst_unused:UNUSED_PAD src0_sel:DWORD src1_sel:WORD_0
	v_add3_u32 v1, 0, v23, v1
	ds_write_b16 v1, v0
	ds_write_b16 v1, v26 offset:6
	ds_write_b16 v1, v38 offset:12
	;; [unrolled: 1-line block ×5, first 2 shown]
.LBB0_29:
	s_or_b32 exec_lo, exec_lo, s1
	s_waitcnt lgkmcnt(0)
	s_barrier
	buffer_gl0_inv
	ds_read_u16 v23, v20
	ds_read_u16 v45, v20 offset:576
	ds_read_u16 v41, v20 offset:2304
	;; [unrolled: 1-line block ×7, first 2 shown]
	ds_read_u16 v1, v21
	ds_read_u16 v43, v20 offset:3096
	ds_read_u16 v49, v20 offset:2880
	;; [unrolled: 1-line block ×3, first 2 shown]
	s_and_saveexec_b32 s1, s0
	s_cbranch_execz .LBB0_31
; %bb.30:
	ds_read_u16 v26, v20 offset:1008
	ds_read_u16 v38, v20 offset:1584
	ds_read_u16 v39, v20 offset:2160
	ds_read_u16 v40, v20 offset:2736
	ds_read_u16 v0, v22
	ds_read_u16 v42, v20 offset:3312
.LBB0_31:
	s_or_b32 exec_lo, exec_lo, s1
	v_mul_lo_u16 v2, v2, 57
	v_mov_b32_e32 v52, 5
	v_mov_b32_e32 v55, 0xe38f
	v_mov_b32_e32 v59, 1
	v_lshrrev_b16 v51, 10, v2
	v_mul_lo_u16 v2, v12, 57
	v_mul_lo_u16 v12, v51, 18
	v_lshrrev_b16 v53, 10, v2
	v_sub_nc_u16 v12, v3, v12
	v_mul_lo_u16 v2, v53, 18
	v_mul_u32_u24_sdwa v54, v12, v52 dst_sel:DWORD dst_unused:UNUSED_PAD src0_sel:BYTE_0 src1_sel:DWORD
	v_sub_nc_u16 v6, v6, v2
	v_lshlrev_b32_sdwa v12, v59, v12 dst_sel:DWORD dst_unused:UNUSED_PAD src0_sel:DWORD src1_sel:BYTE_0
	v_lshlrev_b32_e32 v2, 2, v54
	v_mul_u32_u24_sdwa v54, v6, v52 dst_sel:DWORD dst_unused:UNUSED_PAD src0_sel:BYTE_0 src1_sel:DWORD
	s_clause 0x1
	global_load_dwordx4 v[62:65], v2, s[12:13] offset:60
	global_load_dword v74, v2, s[12:13] offset:76
	v_mul_u32_u24_sdwa v2, v7, v55 dst_sel:DWORD dst_unused:UNUSED_PAD src0_sel:WORD_0 src1_sel:DWORD
	v_lshlrev_b32_e32 v54, 2, v54
	v_lshrrev_b32_e32 v55, 20, v2
	s_clause 0x1
	global_load_dwordx4 v[66:69], v54, s[12:13] offset:60
	global_load_dword v75, v54, s[12:13] offset:76
	v_mul_lo_u16 v2, v55, 18
	v_sub_nc_u16 v2, v7, v2
	v_mul_u32_u24_sdwa v7, v2, v52 dst_sel:DWORD dst_unused:UNUSED_PAD src0_sel:WORD_0 src1_sel:DWORD
	v_lshlrev_b32_sdwa v52, v59, v6 dst_sel:DWORD dst_unused:UNUSED_PAD src0_sel:DWORD src1_sel:BYTE_0
	v_mul_lo_u16 v6, 0x6c, v55
	v_lshlrev_b32_e32 v7, 2, v7
	s_clause 0x1
	global_load_dwordx4 v[70:73], v7, s[12:13] offset:60
	global_load_dword v76, v7, s[12:13] offset:76
	v_mov_b32_e32 v7, 0xd8
	s_waitcnt vmcnt(0) lgkmcnt(0)
	s_barrier
	buffer_gl0_inv
	v_mul_u32_u24_sdwa v51, v51, v7 dst_sel:DWORD dst_unused:UNUSED_PAD src0_sel:WORD_0 src1_sel:DWORD
	v_mul_u32_u24_sdwa v7, v53, v7 dst_sel:DWORD dst_unused:UNUSED_PAD src0_sel:WORD_0 src1_sel:DWORD
	v_add3_u32 v12, 0, v51, v12
	v_add3_u32 v7, 0, v7, v52
	v_mul_f16_sdwa v61, v36, v63 dst_sel:DWORD dst_unused:UNUSED_PAD src0_sel:DWORD src1_sel:WORD_1
	v_mul_f16_sdwa v79, v48, v64 dst_sel:DWORD dst_unused:UNUSED_PAD src0_sel:DWORD src1_sel:WORD_1
	;; [unrolled: 1-line block ×20, first 2 shown]
	v_fmac_f16_e32 v61, v50, v63
	v_fma_f16 v50, v34, v64, -v79
	v_fmac_f16_e32 v60, v48, v64
	v_fma_f16 v35, v35, v74, -v81
	v_fmac_f16_e32 v57, v49, v74
	v_fmac_f16_e32 v51, v47, v66
	v_fma_f16 v47, v27, v68, -v84
	v_fma_f16 v27, v32, v69, -v85
	;; [unrolled: 1-line block ×3, first 2 shown]
	v_fmac_f16_e32 v53, v43, v75
	v_fma_f16 v31, v31, v62, -v77
	v_mul_f16_sdwa v29, v26, v70 dst_sel:DWORD dst_unused:UNUSED_PAD src0_sel:DWORD src1_sel:WORD_1
	v_mul_f16_sdwa v43, v13, v73 dst_sel:DWORD dst_unused:UNUSED_PAD src0_sel:DWORD src1_sel:WORD_1
	v_fmac_f16_e32 v58, v45, v62
	v_fma_f16 v36, v36, v63, -v78
	v_fma_f16 v34, v28, v65, -v80
	v_fmac_f16_e32 v56, v41, v65
	v_fma_f16 v28, v33, v66, -v82
	v_fma_f16 v30, v30, v67, -v83
	v_fmac_f16_e32 v55, v44, v67
	v_fmac_f16_e32 v54, v37, v68
	;; [unrolled: 1-line block ×3, first 2 shown]
	v_mul_f16_sdwa v44, v14, v70 dst_sel:DWORD dst_unused:UNUSED_PAD src0_sel:DWORD src1_sel:WORD_1
	v_mul_f16_sdwa v37, v38, v71 dst_sel:DWORD dst_unused:UNUSED_PAD src0_sel:DWORD src1_sel:WORD_1
	;; [unrolled: 1-line block ×7, first 2 shown]
	v_fma_f16 v33, v14, v70, -v29
	v_fmac_f16_e32 v43, v40, v73
	v_add_f16_e32 v29, v50, v35
	v_add_f16_e32 v40, v60, v57
	v_mul_f16_sdwa v45, v11, v72 dst_sel:DWORD dst_unused:UNUSED_PAD src0_sel:DWORD src1_sel:WORD_1
	v_fmac_f16_e32 v44, v26, v70
	v_fma_f16 v14, v24, v71, -v37
	v_fmac_f16_e32 v46, v38, v71
	v_fma_f16 v38, v11, v72, -v48
	v_fma_f16 v11, v13, v73, -v49
	v_fma_f16 v37, v25, v76, -v62
	v_fmac_f16_e32 v41, v42, v76
	v_add_f16_e32 v13, v9, v36
	v_add_f16_e32 v24, v36, v34
	;; [unrolled: 1-line block ×3, first 2 shown]
	v_sub_f16_e32 v42, v50, v35
	v_add_f16_e32 v48, v10, v30
	v_add_f16_e32 v49, v30, v27
	;; [unrolled: 1-line block ×5, first 2 shown]
	v_fmac_f16_e32 v31, -0.5, v29
	v_fma_f16 v29, -0.5, v40, v58
	v_fmac_f16_e32 v45, v39, v72
	v_sub_f16_e32 v39, v60, v57
	v_sub_f16_e32 v25, v61, v56
	v_sub_f16_e32 v64, v54, v53
	v_sub_f16_e32 v47, v47, v32
	v_add_f16_e32 v13, v13, v34
	v_fmac_f16_e32 v9, -0.5, v24
	v_add_f16_e32 v26, v26, v35
	v_add_f16_e32 v40, v48, v27
	v_fmac_f16_e32 v10, -0.5, v49
	v_add_f16_e32 v48, v62, v32
	v_fmac_f16_e32 v28, -0.5, v63
	v_fma_f16 v24, -0.5, v65, v51
	v_add_f16_e32 v49, v38, v37
	v_fmamk_f16 v32, v42, 0xbaee, v29
	v_sub_f16_e32 v50, v55, v52
	v_fmamk_f16 v35, v39, 0x3aee, v31
	v_fmac_f16_e32 v31, 0xbaee, v39
	v_add_f16_e32 v63, v45, v41
	v_fmamk_f16 v66, v25, 0x3aee, v9
	v_fmac_f16_e32 v9, 0xbaee, v25
	v_add_f16_e32 v67, v13, v26
	v_sub_f16_e32 v68, v13, v26
	v_fmamk_f16 v26, v64, 0x3aee, v28
	v_fmac_f16_e32 v28, 0xbaee, v64
	v_fmamk_f16 v25, v47, 0xbaee, v24
	v_fma_f16 v13, -0.5, v49, v33
	v_mul_f16_e32 v49, 0x3aee, v32
	v_fmac_f16_e32 v29, 0x3aee, v42
	v_fmamk_f16 v69, v50, 0x3aee, v10
	v_fmac_f16_e32 v10, 0xbaee, v50
	v_mul_f16_e32 v50, -0.5, v31
	v_sub_f16_e32 v62, v45, v41
	v_sub_f16_e32 v65, v38, v37
	v_fmac_f16_e32 v24, 0x3aee, v47
	v_add_f16_e32 v47, v40, v48
	v_sub_f16_e32 v48, v40, v48
	v_fma_f16 v40, -0.5, v63, v44
	v_mul_f16_e32 v63, 0x3aee, v25
	v_mul_f16_e32 v64, -0.5, v28
	v_fmac_f16_e32 v49, 0.5, v35
	v_fmac_f16_e32 v50, 0x3aee, v29
	v_fmamk_f16 v42, v62, 0x3aee, v13
	v_fmac_f16_e32 v13, 0xbaee, v62
	v_fmamk_f16 v39, v65, 0xbaee, v40
	v_fmac_f16_e32 v40, 0x3aee, v65
	v_fmac_f16_e32 v63, 0.5, v26
	v_fmac_f16_e32 v64, 0x3aee, v24
	v_add_f16_e32 v62, v66, v49
	v_add_f16_e32 v65, v9, v50
	v_sub_f16_e32 v49, v66, v49
	v_sub_f16_e32 v9, v9, v50
	ds_write_b16 v12, v67
	ds_write_b16 v12, v68 offset:108
	v_add_f16_e32 v50, v69, v63
	v_add_f16_e32 v66, v10, v64
	v_sub_f16_e32 v63, v69, v63
	v_sub_f16_e32 v10, v10, v64
	ds_write_b16 v12, v62 offset:36
	ds_write_b16 v12, v65 offset:72
	ds_write_b16 v12, v49 offset:144
	ds_write_b16 v12, v9 offset:180
	ds_write_b16 v7, v47
	ds_write_b16 v7, v50 offset:36
	ds_write_b16 v7, v66 offset:72
	;; [unrolled: 1-line block ×5, first 2 shown]
	s_and_saveexec_b32 s1, s0
	s_cbranch_execz .LBB0_33
; %bb.32:
	v_add_f16_e32 v9, v14, v11
	v_add_f16_e32 v49, v8, v14
	v_sub_f16_e32 v10, v46, v43
	v_mul_f16_e32 v48, 0x3aee, v39
	v_mul_f16_e32 v47, -0.5, v13
	v_fma_f16 v8, -0.5, v9, v8
	v_add_f16_e32 v9, v33, v38
	v_add_f16_e32 v33, v49, v11
	v_lshlrev_b32_sdwa v49, v59, v6 dst_sel:DWORD dst_unused:UNUSED_PAD src0_sel:DWORD src1_sel:WORD_0
	v_fmac_f16_e32 v48, 0.5, v42
	v_fmamk_f16 v38, v10, 0xbaee, v8
	v_add_f16_e32 v9, v9, v37
	v_lshlrev_b32_sdwa v37, v59, v2 dst_sel:DWORD dst_unused:UNUSED_PAD src0_sel:DWORD src1_sel:WORD_0
	v_fmac_f16_e32 v8, 0x3aee, v10
	v_fmac_f16_e32 v47, 0x3aee, v40
	v_add_f16_e32 v50, v33, v9
	v_add3_u32 v37, 0, v37, v49
	v_add_f16_e32 v49, v8, v48
	v_sub_f16_e32 v10, v38, v47
	v_add_f16_e32 v38, v38, v47
	v_sub_f16_e32 v9, v33, v9
	v_sub_f16_e32 v8, v8, v48
	ds_write_b16 v37, v50
	ds_write_b16 v37, v49 offset:36
	ds_write_b16 v37, v38 offset:72
	;; [unrolled: 1-line block ×5, first 2 shown]
.LBB0_33:
	s_or_b32 exec_lo, exec_lo, s1
	v_add_f16_e32 v8, v61, v56
	v_add_f16_e32 v9, v23, v61
	v_sub_f16_e32 v10, v36, v34
	v_add_f16_e32 v33, v58, v60
	v_mul_f16_e32 v34, 0xbaee, v35
	v_fmac_f16_e32 v23, -0.5, v8
	v_mul_f16_e32 v8, -0.5, v29
	v_add_f16_e32 v9, v9, v56
	v_add_f16_e32 v29, v33, v57
	v_fmac_f16_e32 v34, 0.5, v32
	v_fmamk_f16 v32, v10, 0xbaee, v23
	v_fmac_f16_e32 v23, 0x3aee, v10
	v_add_f16_e32 v10, v55, v52
	v_fmac_f16_e32 v8, 0xbaee, v31
	v_add_f16_e32 v50, v9, v29
	v_sub_f16_e32 v9, v9, v29
	v_add_f16_e32 v29, v1, v55
	v_fmac_f16_e32 v1, -0.5, v10
	v_sub_f16_e32 v10, v30, v27
	v_add_f16_e32 v27, v51, v54
	v_mul_f16_e32 v51, 0xbaee, v26
	v_mul_f16_e32 v58, -0.5, v24
	v_lshl_add_u32 v47, v5, 1, 0
	v_lshl_add_u32 v49, v3, 1, 0
	v_add_f16_e32 v56, v32, v34
	v_add_f16_e32 v57, v23, v8
	v_sub_f16_e32 v54, v32, v34
	v_add_f16_e32 v52, v29, v52
	v_add_f16_e32 v53, v27, v53
	v_fmac_f16_e32 v51, 0.5, v25
	v_sub_f16_e32 v8, v23, v8
	v_fmac_f16_e32 v58, 0xbaee, v28
	s_waitcnt lgkmcnt(0)
	s_barrier
	buffer_gl0_inv
	ds_read_u16 v33, v22
	v_lshl_add_u32 v48, v4, 1, 0
	ds_read_u16 v24, v47
	ds_read_u16 v29, v21
	ds_read_u16 v25, v49 offset:1080
	ds_read_u16 v23, v20
	ds_read_u16 v35, v20 offset:1296
	ds_read_u16 v27, v20 offset:1512
	;; [unrolled: 1-line block ×9, first 2 shown]
	ds_read_u16 v34, v48
	ds_read_u16 v30, v20 offset:3240
	v_fmamk_f16 v55, v10, 0xbaee, v1
	v_fmac_f16_e32 v1, 0x3aee, v10
	v_add_f16_e32 v10, v52, v53
	v_sub_f16_e32 v5, v52, v53
	s_waitcnt lgkmcnt(0)
	v_add_f16_e32 v59, v55, v51
	v_add_f16_e32 v4, v1, v58
	v_sub_f16_e32 v51, v55, v51
	v_sub_f16_e32 v1, v1, v58
	s_barrier
	buffer_gl0_inv
	ds_write_b16 v12, v50
	ds_write_b16 v12, v56 offset:36
	ds_write_b16 v12, v57 offset:72
	ds_write_b16 v12, v9 offset:108
	ds_write_b16 v12, v54 offset:144
	ds_write_b16 v12, v8 offset:180
	ds_write_b16 v7, v10
	ds_write_b16 v7, v59 offset:36
	ds_write_b16 v7, v4 offset:72
	;; [unrolled: 1-line block ×5, first 2 shown]
	s_and_saveexec_b32 s1, s0
	s_cbranch_execz .LBB0_35
; %bb.34:
	v_add_f16_e32 v1, v46, v43
	v_add_f16_e32 v4, v0, v46
	v_sub_f16_e32 v5, v14, v11
	v_add_f16_e32 v7, v44, v45
	v_mov_b32_e32 v9, 1
	v_fmac_f16_e32 v0, -0.5, v1
	v_mul_f16_e32 v1, 0xbaee, v42
	v_mul_f16_e32 v8, -0.5, v40
	v_add_f16_e32 v4, v4, v43
	v_lshlrev_b32_sdwa v2, v9, v2 dst_sel:DWORD dst_unused:UNUSED_PAD src0_sel:DWORD src1_sel:WORD_0
	v_fmamk_f16 v10, v5, 0xbaee, v0
	v_fmamk_f16 v0, v5, 0x3aee, v0
	v_add_f16_e32 v5, v7, v41
	v_lshlrev_b32_sdwa v6, v9, v6 dst_sel:DWORD dst_unused:UNUSED_PAD src0_sel:DWORD src1_sel:WORD_0
	v_fmac_f16_e32 v1, 0.5, v39
	v_fmac_f16_e32 v8, 0xbaee, v13
	v_add_f16_e32 v7, v4, v5
	v_add3_u32 v2, 0, v2, v6
	v_add_f16_e32 v9, v10, v1
	v_add_f16_e32 v6, v0, v8
	v_sub_f16_e32 v4, v4, v5
	v_sub_f16_e32 v1, v10, v1
	;; [unrolled: 1-line block ×3, first 2 shown]
	ds_write_b16 v2, v7
	ds_write_b16 v2, v9 offset:36
	ds_write_b16 v2, v6 offset:72
	;; [unrolled: 1-line block ×5, first 2 shown]
.LBB0_35:
	s_or_b32 exec_lo, exec_lo, s1
	s_waitcnt lgkmcnt(0)
	s_barrier
	buffer_gl0_inv
	s_and_saveexec_b32 s0, vcc_lo
	s_cbranch_execz .LBB0_37
; %bb.36:
	v_mul_u32_u24_e32 v0, 15, v3
	v_mul_lo_u32 v66, s5, v17
	v_mul_lo_u32 v67, s4, v18
	v_mad_u64_u32 v[42:43], null, s4, v17, 0
	v_lshlrev_b32_e32 v12, 2, v0
	v_mad_u64_u32 v[44:45], null, s2, v19, 0
	v_add_nc_u32_e32 v68, 0x6c, v19
	v_add_nc_u32_e32 v69, 0xd8, v19
	s_clause 0x3
	global_load_dwordx4 v[0:3], v12, s[12:13] offset:436
	global_load_dwordx4 v[4:7], v12, s[12:13] offset:420
	;; [unrolled: 1-line block ×3, first 2 shown]
	global_load_dwordx3 v[12:14], v12, s[12:13] offset:468
	ds_read_u16 v17, v22
	ds_read_u16 v18, v21
	ds_read_u16 v22, v49 offset:1080
	ds_read_u16 v39, v47
	ds_read_u16 v21, v48
	ds_read_u16 v40, v20 offset:3240
	ds_read_u16 v78, v20 offset:3024
	ds_read_u16 v41, v20 offset:2808
	v_add_nc_u32_e32 v70, 0x144, v19
	v_add_nc_u32_e32 v71, 0x1b0, v19
	;; [unrolled: 1-line block ×4, first 2 shown]
	v_mad_u64_u32 v[46:47], null, s2, v68, 0
	v_add_nc_u32_e32 v74, 0x2f4, v19
	v_mad_u64_u32 v[48:49], null, s2, v69, 0
	v_add_nc_u32_e32 v75, 0x360, v19
	;; [unrolled: 2-line block ×3, first 2 shown]
	ds_read_u16 v79, v20 offset:2592
	ds_read_u16 v80, v20 offset:2376
	;; [unrolled: 1-line block ×7, first 2 shown]
	ds_read_u16 v86, v20
	v_mad_u64_u32 v[52:53], null, s2, v71, 0
	v_mov_b32_e32 v20, v45
	v_mad_u64_u32 v[54:55], null, s2, v72, 0
	v_mad_u64_u32 v[56:57], null, s2, v73, 0
	;; [unrolled: 1-line block ×4, first 2 shown]
	v_add_nc_u32_e32 v77, 0x438, v19
	v_mad_u64_u32 v[62:63], null, s2, v76, 0
	v_add3_u32 v43, v43, v67, v66
	s_waitcnt lgkmcnt(11)
	v_mad_u64_u32 v[66:67], null, s3, v19, v[20:21]
	v_mov_b32_e32 v20, v47
	v_mov_b32_e32 v45, v49
	;; [unrolled: 1-line block ×5, first 2 shown]
	v_mad_u64_u32 v[64:65], null, s2, v77, 0
	v_mov_b32_e32 v53, v57
	v_mad_u64_u32 v[67:68], null, s3, v68, v[20:21]
	v_mov_b32_e32 v55, v59
	;; [unrolled: 2-line block ×4, first 2 shown]
	v_mad_u64_u32 v[70:71], null, s3, v71, v[49:50]
	v_mad_u64_u32 v[71:72], null, s3, v72, v[51:52]
	;; [unrolled: 1-line block ×5, first 2 shown]
	v_lshlrev_b64 v[42:43], 2, v[42:43]
	v_mov_b32_e32 v61, v65
	v_mad_u64_u32 v[75:76], null, s3, v76, v[59:60]
	v_lshlrev_b64 v[15:16], 2, v[15:16]
	v_mov_b32_e32 v45, v66
	v_mad_u64_u32 v[76:77], null, s3, v77, v[61:62]
	v_add_co_u32 v20, vcc_lo, s10, v42
	v_add_co_ci_u32_e32 v42, vcc_lo, s11, v43, vcc_lo
	v_mov_b32_e32 v47, v67
	v_mov_b32_e32 v49, v68
	;; [unrolled: 1-line block ×9, first 2 shown]
	v_add_co_u32 v20, vcc_lo, v20, v15
	v_add_co_ci_u32_e32 v66, vcc_lo, v42, v16, vcc_lo
	v_lshlrev_b64 v[15:16], 2, v[44:45]
	v_mov_b32_e32 v65, v76
	v_lshlrev_b64 v[42:43], 2, v[46:47]
	v_lshlrev_b64 v[44:45], 2, v[48:49]
	v_lshlrev_b64 v[46:47], 2, v[50:51]
	v_lshlrev_b64 v[48:49], 2, v[52:53]
	v_lshlrev_b64 v[50:51], 2, v[54:55]
	v_lshlrev_b64 v[52:53], 2, v[56:57]
	v_lshlrev_b64 v[54:55], 2, v[58:59]
	v_lshlrev_b64 v[56:57], 2, v[60:61]
	v_lshlrev_b64 v[58:59], 2, v[62:63]
	v_add_co_u32 v15, vcc_lo, v20, v15
	v_add_co_ci_u32_e32 v16, vcc_lo, v66, v16, vcc_lo
	v_add_co_u32 v42, vcc_lo, v20, v42
	v_add_co_ci_u32_e32 v43, vcc_lo, v66, v43, vcc_lo
	;; [unrolled: 2-line block ×8, first 2 shown]
	v_add_nc_u32_e32 v87, 0x4a4, v19
	v_add_co_u32 v56, vcc_lo, v20, v56
	v_add_co_ci_u32_e32 v57, vcc_lo, v66, v57, vcc_lo
	v_add_co_u32 v58, vcc_lo, v20, v58
	v_add_co_ci_u32_e32 v59, vcc_lo, v66, v59, vcc_lo
	s_waitcnt vmcnt(3) lgkmcnt(3)
	v_mul_f16_sdwa v60, v83, v3 dst_sel:DWORD dst_unused:UNUSED_PAD src0_sel:DWORD src1_sel:WORD_1
	s_waitcnt vmcnt(2)
	v_mul_f16_sdwa v61, v24, v7 dst_sel:DWORD dst_unused:UNUSED_PAD src0_sel:DWORD src1_sel:WORD_1
	s_waitcnt vmcnt(1)
	v_mul_f16_sdwa v62, v26, v11 dst_sel:DWORD dst_unused:UNUSED_PAD src0_sel:DWORD src1_sel:WORD_1
	v_mul_f16_sdwa v63, v17, v5 dst_sel:DWORD dst_unused:UNUSED_PAD src0_sel:DWORD src1_sel:WORD_1
	v_mul_f16_sdwa v67, v81, v9 dst_sel:DWORD dst_unused:UNUSED_PAD src0_sel:DWORD src1_sel:WORD_1
	v_mul_f16_sdwa v68, v35, v1 dst_sel:DWORD dst_unused:UNUSED_PAD src0_sel:DWORD src1_sel:WORD_1
	s_waitcnt vmcnt(0)
	v_mul_f16_sdwa v69, v37, v13 dst_sel:DWORD dst_unused:UNUSED_PAD src0_sel:DWORD src1_sel:WORD_1
	v_mul_f16_sdwa v70, v33, v5 dst_sel:DWORD dst_unused:UNUSED_PAD src0_sel:DWORD src1_sel:WORD_1
	;; [unrolled: 1-line block ×3, first 2 shown]
	s_waitcnt lgkmcnt(1)
	v_mul_f16_sdwa v72, v85, v1 dst_sel:DWORD dst_unused:UNUSED_PAD src0_sel:DWORD src1_sel:WORD_1
	v_mul_f16_sdwa v73, v78, v13 dst_sel:DWORD dst_unused:UNUSED_PAD src0_sel:DWORD src1_sel:WORD_1
	;; [unrolled: 1-line block ×21, first 2 shown]
	v_fma_f16 v33, v33, v5, -v63
	v_fma_f16 v38, v38, v9, -v67
	v_fmac_f16_e32 v68, v85, v1
	v_fmac_f16_e32 v69, v78, v13
	;; [unrolled: 1-line block ×4, first 2 shown]
	v_fma_f16 v1, v35, v1, -v72
	v_fma_f16 v5, v37, v13, -v73
	v_fma_f16 v9, v36, v3, -v60
	v_fmac_f16_e32 v61, v39, v7
	v_fmac_f16_e32 v62, v79, v11
	v_fma_f16 v13, v29, v4, -v74
	v_fma_f16 v17, v32, v8, -v75
	v_fmac_f16_e32 v76, v22, v0
	v_fmac_f16_e32 v77, v41, v12
	v_fma_f16 v22, v34, v6, -v88
	v_fma_f16 v29, v31, v10, -v89
	v_fmac_f16_e32 v90, v84, v2
	v_fmac_f16_e32 v91, v40, v14
	;; [unrolled: 1-line block ×4, first 2 shown]
	v_fma_f16 v2, v27, v2, -v94
	v_fma_f16 v6, v30, v14, -v95
	v_fmac_f16_e32 v96, v4, v18
	v_fmac_f16_e32 v97, v8, v82
	v_fma_f16 v0, v25, v0, -v98
	v_fma_f16 v4, v28, v12, -v99
	v_fmac_f16_e32 v100, v3, v83
	v_fma_f16 v3, v24, v7, -v101
	v_fma_f16 v7, v26, v11, -v102
	v_sub_f16_e32 v8, v23, v9
	v_sub_f16_e32 v9, v61, v62
	;; [unrolled: 1-line block ×14, first 2 shown]
	s_waitcnt lgkmcnt(0)
	v_sub_f16_e32 v26, v86, v100
	v_sub_f16_e32 v7, v3, v7
	;; [unrolled: 1-line block ×4, first 2 shown]
	v_add_f16_e32 v29, v12, v5
	v_sub_f16_e32 v30, v14, v17
	v_sub_f16_e32 v31, v18, v21
	v_add_f16_e32 v32, v24, v6
	v_add_f16_e32 v34, v25, v4
	;; [unrolled: 1-line block ×3, first 2 shown]
	v_fma_f16 v23, v23, 2.0, -v8
	v_fma_f16 v3, v3, 2.0, -v7
	;; [unrolled: 1-line block ×16, first 2 shown]
	v_fmamk_f16 v5, v28, 0x39a8, v27
	v_fmamk_f16 v37, v31, 0x39a8, v30
	;; [unrolled: 1-line block ×4, first 2 shown]
	v_fma_f16 v8, v8, 2.0, -v27
	v_fma_f16 v10, v10, 2.0, -v28
	;; [unrolled: 1-line block ×8, first 2 shown]
	v_sub_f16_e32 v3, v23, v3
	v_sub_f16_e32 v11, v7, v11
	;; [unrolled: 1-line block ×8, first 2 shown]
	v_fmac_f16_e32 v5, 0xb9a8, v29
	v_fmac_f16_e32 v37, 0xb9a8, v32
	;; [unrolled: 1-line block ×4, first 2 shown]
	v_fmamk_f16 v28, v10, 0xb9a8, v8
	v_fmamk_f16 v29, v18, 0xb9a8, v14
	v_fmamk_f16 v31, v24, 0xb9a8, v25
	v_fmamk_f16 v32, v12, 0xb9a8, v26
	v_sub_f16_e32 v40, v3, v11
	v_sub_f16_e32 v41, v0, v21
	v_add_f16_e32 v60, v17, v2
	v_add_f16_e32 v61, v1, v9
	v_fma_f16 v23, v23, 2.0, -v3
	v_fma_f16 v1, v33, 2.0, -v1
	v_fma_f16 v33, v36, 2.0, -v17
	v_fma_f16 v4, v4, 2.0, -v21
	v_fma_f16 v6, v6, 2.0, -v9
	v_fma_f16 v7, v7, 2.0, -v11
	v_fma_f16 v11, v13, 2.0, -v0
	v_fma_f16 v2, v22, 2.0, -v2
	v_fma_f16 v21, v30, 2.0, -v37
	v_fma_f16 v22, v34, 2.0, -v38
	v_fmac_f16_e32 v28, 0xb9a8, v12
	v_fmac_f16_e32 v29, 0xb9a8, v24
	;; [unrolled: 1-line block ×4, first 2 shown]
	v_fmamk_f16 v18, v37, 0x3b64, v5
	v_fmamk_f16 v24, v38, 0x3b64, v39
	;; [unrolled: 1-line block ×4, first 2 shown]
	v_fma_f16 v3, v3, 2.0, -v40
	v_fma_f16 v0, v0, 2.0, -v41
	;; [unrolled: 1-line block ×4, first 2 shown]
	v_sub_f16_e32 v1, v23, v1
	v_sub_f16_e32 v4, v33, v4
	;; [unrolled: 1-line block ×4, first 2 shown]
	v_fma_f16 v13, v27, 2.0, -v5
	v_fma_f16 v27, v35, 2.0, -v39
	v_fmac_f16_e32 v18, 0xb61f, v38
	v_fmac_f16_e32 v24, 0x361f, v37
	;; [unrolled: 1-line block ×4, first 2 shown]
	v_fmamk_f16 v37, v0, 0xb9a8, v3
	v_fmamk_f16 v38, v10, 0xb9a8, v9
	v_sub_f16_e32 v41, v1, v4
	v_add_f16_e32 v60, v7, v2
	v_fma_f16 v8, v8, 2.0, -v28
	v_fma_f16 v14, v14, 2.0, -v29
	;; [unrolled: 1-line block ×8, first 2 shown]
	v_fmamk_f16 v12, v21, 0xb61f, v13
	v_fmamk_f16 v17, v22, 0xb61f, v27
	v_fmac_f16_e32 v37, 0xb9a8, v10
	v_fmac_f16_e32 v38, 0x39a8, v0
	v_fma_f16 v0, v1, 2.0, -v41
	v_fma_f16 v1, v7, 2.0, -v60
	v_fmamk_f16 v7, v14, 0xbb64, v8
	v_fmamk_f16 v10, v25, 0xbb64, v26
	;; [unrolled: 1-line block ×4, first 2 shown]
	v_sub_f16_e32 v2, v23, v2
	v_sub_f16_e32 v4, v6, v4
	v_fmac_f16_e32 v12, 0xbb64, v22
	v_fmac_f16_e32 v17, 0x3b64, v21
	v_fma_f16 v21, v40, 2.0, -v30
	v_fma_f16 v22, v61, 2.0, -v34
	v_fmac_f16_e32 v7, 0xb61f, v25
	v_fmac_f16_e32 v10, 0x361f, v14
	;; [unrolled: 1-line block ×4, first 2 shown]
	v_fma_f16 v14, v23, 2.0, -v2
	v_fma_f16 v6, v6, 2.0, -v4
	v_pack_b32_f16 v0, v0, v1
	v_pack_b32_f16 v1, v21, v22
	v_fma_f16 v8, v8, 2.0, -v7
	v_fma_f16 v21, v26, 2.0, -v10
	;; [unrolled: 1-line block ×10, first 2 shown]
	v_pack_b32_f16 v2, v2, v4
	v_pack_b32_f16 v4, v14, v6
	;; [unrolled: 1-line block ×3, first 2 shown]
	v_add_nc_u32_e32 v10, 0x510, v19
	v_pack_b32_f16 v6, v8, v21
	v_pack_b32_f16 v3, v3, v9
	;; [unrolled: 1-line block ×3, first 2 shown]
	v_add_nc_u32_e32 v13, 0x57c, v19
	v_pack_b32_f16 v5, v5, v11
	v_pack_b32_f16 v9, v28, v29
	global_store_dword v[15:16], v4, off
	global_store_dword v[42:43], v6, off
	;; [unrolled: 1-line block ×10, first 2 shown]
	v_mad_u64_u32 v[2:3], null, s2, v87, 0
	v_mad_u64_u32 v[4:5], null, s2, v10, 0
	;; [unrolled: 1-line block ×3, first 2 shown]
	v_lshlrev_b64 v[0:1], 2, v[64:65]
	v_add_nc_u32_e32 v15, 0x5e8, v19
	v_pack_b32_f16 v14, v37, v38
	v_mad_u64_u32 v[8:9], null, s3, v87, v[3:4]
	v_mad_u64_u32 v[9:10], null, s3, v10, v[5:6]
	v_mov_b32_e32 v5, v7
	v_mad_u64_u32 v[10:11], null, s2, v15, 0
	v_add_co_u32 v0, vcc_lo, v20, v0
	v_mov_b32_e32 v3, v8
	v_mad_u64_u32 v[7:8], null, s3, v13, v[5:6]
	v_add_nc_u32_e32 v13, 0x654, v19
	v_add_co_ci_u32_e32 v1, vcc_lo, v66, v1, vcc_lo
	v_mov_b32_e32 v5, v9
	v_mad_u64_u32 v[8:9], null, s2, v13, 0
	global_store_dword v[0:1], v14, off
	v_lshlrev_b64 v[0:1], 2, v[2:3]
	v_mov_b32_e32 v2, v11
	v_lshlrev_b64 v[4:5], 2, v[4:5]
	v_pack_b32_f16 v14, v12, v17
	v_lshlrev_b64 v[6:7], 2, v[6:7]
	v_mad_u64_u32 v[2:3], null, s3, v15, v[2:3]
	v_mov_b32_e32 v3, v9
	v_add_co_u32 v0, vcc_lo, v20, v0
	v_add_co_ci_u32_e32 v1, vcc_lo, v66, v1, vcc_lo
	v_mad_u64_u32 v[12:13], null, s3, v13, v[3:4]
	v_mov_b32_e32 v11, v2
	v_add_co_u32 v2, vcc_lo, v20, v4
	v_add_co_ci_u32_e32 v3, vcc_lo, v66, v5, vcc_lo
	v_lshlrev_b64 v[4:5], 2, v[10:11]
	v_mov_b32_e32 v9, v12
	v_add_co_u32 v6, vcc_lo, v20, v6
	v_add_co_ci_u32_e32 v7, vcc_lo, v66, v7, vcc_lo
	v_lshlrev_b64 v[8:9], 2, v[8:9]
	v_add_co_u32 v4, vcc_lo, v20, v4
	v_pack_b32_f16 v13, v41, v60
	v_add_co_ci_u32_e32 v5, vcc_lo, v66, v5, vcc_lo
	v_pack_b32_f16 v10, v35, v36
	v_add_co_u32 v8, vcc_lo, v20, v8
	v_pack_b32_f16 v11, v30, v34
	v_add_co_ci_u32_e32 v9, vcc_lo, v66, v9, vcc_lo
	v_pack_b32_f16 v12, v18, v24
	global_store_dword v[0:1], v14, off
	global_store_dword v[2:3], v13, off
	;; [unrolled: 1-line block ×5, first 2 shown]
.LBB0_37:
	s_endpgm
	.section	.rodata,"a",@progbits
	.p2align	6, 0x0
	.amdhsa_kernel fft_rtc_fwd_len1728_factors_3_6_6_16_wgs_108_tpt_108_halfLds_half_op_CI_CI_sbrr_dirReg
		.amdhsa_group_segment_fixed_size 0
		.amdhsa_private_segment_fixed_size 0
		.amdhsa_kernarg_size 104
		.amdhsa_user_sgpr_count 6
		.amdhsa_user_sgpr_private_segment_buffer 1
		.amdhsa_user_sgpr_dispatch_ptr 0
		.amdhsa_user_sgpr_queue_ptr 0
		.amdhsa_user_sgpr_kernarg_segment_ptr 1
		.amdhsa_user_sgpr_dispatch_id 0
		.amdhsa_user_sgpr_flat_scratch_init 0
		.amdhsa_user_sgpr_private_segment_size 0
		.amdhsa_wavefront_size32 1
		.amdhsa_uses_dynamic_stack 0
		.amdhsa_system_sgpr_private_segment_wavefront_offset 0
		.amdhsa_system_sgpr_workgroup_id_x 1
		.amdhsa_system_sgpr_workgroup_id_y 0
		.amdhsa_system_sgpr_workgroup_id_z 0
		.amdhsa_system_sgpr_workgroup_info 0
		.amdhsa_system_vgpr_workitem_id 0
		.amdhsa_next_free_vgpr 103
		.amdhsa_next_free_sgpr 31
		.amdhsa_reserve_vcc 1
		.amdhsa_reserve_flat_scratch 0
		.amdhsa_float_round_mode_32 0
		.amdhsa_float_round_mode_16_64 0
		.amdhsa_float_denorm_mode_32 3
		.amdhsa_float_denorm_mode_16_64 3
		.amdhsa_dx10_clamp 1
		.amdhsa_ieee_mode 1
		.amdhsa_fp16_overflow 0
		.amdhsa_workgroup_processor_mode 1
		.amdhsa_memory_ordered 1
		.amdhsa_forward_progress 0
		.amdhsa_shared_vgpr_count 0
		.amdhsa_exception_fp_ieee_invalid_op 0
		.amdhsa_exception_fp_denorm_src 0
		.amdhsa_exception_fp_ieee_div_zero 0
		.amdhsa_exception_fp_ieee_overflow 0
		.amdhsa_exception_fp_ieee_underflow 0
		.amdhsa_exception_fp_ieee_inexact 0
		.amdhsa_exception_int_div_zero 0
	.end_amdhsa_kernel
	.text
.Lfunc_end0:
	.size	fft_rtc_fwd_len1728_factors_3_6_6_16_wgs_108_tpt_108_halfLds_half_op_CI_CI_sbrr_dirReg, .Lfunc_end0-fft_rtc_fwd_len1728_factors_3_6_6_16_wgs_108_tpt_108_halfLds_half_op_CI_CI_sbrr_dirReg
                                        ; -- End function
	.section	.AMDGPU.csdata,"",@progbits
; Kernel info:
; codeLenInByte = 10896
; NumSgprs: 33
; NumVgprs: 103
; ScratchSize: 0
; MemoryBound: 0
; FloatMode: 240
; IeeeMode: 1
; LDSByteSize: 0 bytes/workgroup (compile time only)
; SGPRBlocks: 4
; VGPRBlocks: 12
; NumSGPRsForWavesPerEU: 33
; NumVGPRsForWavesPerEU: 103
; Occupancy: 9
; WaveLimiterHint : 1
; COMPUTE_PGM_RSRC2:SCRATCH_EN: 0
; COMPUTE_PGM_RSRC2:USER_SGPR: 6
; COMPUTE_PGM_RSRC2:TRAP_HANDLER: 0
; COMPUTE_PGM_RSRC2:TGID_X_EN: 1
; COMPUTE_PGM_RSRC2:TGID_Y_EN: 0
; COMPUTE_PGM_RSRC2:TGID_Z_EN: 0
; COMPUTE_PGM_RSRC2:TIDIG_COMP_CNT: 0
	.text
	.p2alignl 6, 3214868480
	.fill 48, 4, 3214868480
	.type	__hip_cuid_843821ee9305cb63,@object ; @__hip_cuid_843821ee9305cb63
	.section	.bss,"aw",@nobits
	.globl	__hip_cuid_843821ee9305cb63
__hip_cuid_843821ee9305cb63:
	.byte	0                               ; 0x0
	.size	__hip_cuid_843821ee9305cb63, 1

	.ident	"AMD clang version 19.0.0git (https://github.com/RadeonOpenCompute/llvm-project roc-6.4.0 25133 c7fe45cf4b819c5991fe208aaa96edf142730f1d)"
	.section	".note.GNU-stack","",@progbits
	.addrsig
	.addrsig_sym __hip_cuid_843821ee9305cb63
	.amdgpu_metadata
---
amdhsa.kernels:
  - .args:
      - .actual_access:  read_only
        .address_space:  global
        .offset:         0
        .size:           8
        .value_kind:     global_buffer
      - .offset:         8
        .size:           8
        .value_kind:     by_value
      - .actual_access:  read_only
        .address_space:  global
        .offset:         16
        .size:           8
        .value_kind:     global_buffer
      - .actual_access:  read_only
        .address_space:  global
        .offset:         24
        .size:           8
        .value_kind:     global_buffer
      - .actual_access:  read_only
        .address_space:  global
        .offset:         32
        .size:           8
        .value_kind:     global_buffer
      - .offset:         40
        .size:           8
        .value_kind:     by_value
      - .actual_access:  read_only
        .address_space:  global
        .offset:         48
        .size:           8
        .value_kind:     global_buffer
      - .actual_access:  read_only
        .address_space:  global
        .offset:         56
        .size:           8
        .value_kind:     global_buffer
      - .offset:         64
        .size:           4
        .value_kind:     by_value
      - .actual_access:  read_only
        .address_space:  global
        .offset:         72
        .size:           8
        .value_kind:     global_buffer
      - .actual_access:  read_only
        .address_space:  global
        .offset:         80
        .size:           8
        .value_kind:     global_buffer
      - .actual_access:  read_only
        .address_space:  global
        .offset:         88
        .size:           8
        .value_kind:     global_buffer
      - .actual_access:  write_only
        .address_space:  global
        .offset:         96
        .size:           8
        .value_kind:     global_buffer
    .group_segment_fixed_size: 0
    .kernarg_segment_align: 8
    .kernarg_segment_size: 104
    .language:       OpenCL C
    .language_version:
      - 2
      - 0
    .max_flat_workgroup_size: 108
    .name:           fft_rtc_fwd_len1728_factors_3_6_6_16_wgs_108_tpt_108_halfLds_half_op_CI_CI_sbrr_dirReg
    .private_segment_fixed_size: 0
    .sgpr_count:     33
    .sgpr_spill_count: 0
    .symbol:         fft_rtc_fwd_len1728_factors_3_6_6_16_wgs_108_tpt_108_halfLds_half_op_CI_CI_sbrr_dirReg.kd
    .uniform_work_group_size: 1
    .uses_dynamic_stack: false
    .vgpr_count:     103
    .vgpr_spill_count: 0
    .wavefront_size: 32
    .workgroup_processor_mode: 1
amdhsa.target:   amdgcn-amd-amdhsa--gfx1030
amdhsa.version:
  - 1
  - 2
...

	.end_amdgpu_metadata
